;; amdgpu-corpus repo=zjin-lcf/HeCBench kind=compiled arch=gfx1100 opt=O3
	.text
	.amdgcn_target "amdgcn-amd-amdhsa--gfx1100"
	.amdhsa_code_object_version 6
	.section	.text._Z18benchmark_constantIiEvPii,"axG",@progbits,_Z18benchmark_constantIiEvPii,comdat
	.protected	_Z18benchmark_constantIiEvPii ; -- Begin function _Z18benchmark_constantIiEvPii
	.globl	_Z18benchmark_constantIiEvPii
	.p2align	8
	.type	_Z18benchmark_constantIiEvPii,@function
_Z18benchmark_constantIiEvPii:          ; @_Z18benchmark_constantIiEvPii
; %bb.0:
	s_mov_b32 s4, 0
	s_mov_b32 s5, -4
	s_getpc_b64 s[2:3]
	s_add_u32 s2, s2, constant_data@rel32@lo+4
	s_addc_u32 s3, s3, constant_data@rel32@hi+12
.LBB0_1:                                ; =>This Inner Loop Header: Depth=1
	s_clause 0xa
	s_load_b32 s6, s[2:3], 0x0
	s_load_b32 s7, s[2:3], 0x10
	;; [unrolled: 1-line block ×11, first 2 shown]
	s_add_i32 s5, s5, 64
	s_waitcnt lgkmcnt(0)
	s_add_i32 s6, s6, s4
	s_load_b32 s4, s[2:3], 0xb0
	s_add_i32 s7, s7, s6
	s_load_b32 s6, s[2:3], 0xc0
	;; [unrolled: 2-line block ×5, first 2 shown]
	s_add_i32 s11, s11, s10
	s_delay_alu instid0(SALU_CYCLE_1) | instskip(NEXT) | instid1(SALU_CYCLE_1)
	s_add_i32 s12, s12, s11
	s_add_i32 s13, s13, s12
	s_delay_alu instid0(SALU_CYCLE_1) | instskip(NEXT) | instid1(SALU_CYCLE_1)
	s_add_i32 s14, s14, s13
	s_add_i32 s16, s16, s14
	s_delay_alu instid0(SALU_CYCLE_1) | instskip(SKIP_2) | instid1(SALU_CYCLE_1)
	s_add_i32 s17, s17, s16
	s_waitcnt lgkmcnt(0)
	s_add_i32 s4, s4, s17
	s_add_i32 s6, s6, s4
	s_delay_alu instid0(SALU_CYCLE_1) | instskip(NEXT) | instid1(SALU_CYCLE_1)
	s_add_i32 s7, s7, s6
	s_add_i32 s8, s8, s7
	s_delay_alu instid0(SALU_CYCLE_1)
	s_add_i32 s4, s9, s8
	s_add_u32 s2, s2, 0x100
	s_addc_u32 s3, s3, 0
	s_cmpk_lt_u32 s5, 0x3fc
	s_cbranch_scc1 .LBB0_1
; %bb.2:
	s_mov_b32 s5, -4
	s_getpc_b64 s[2:3]
	s_add_u32 s2, s2, constant_data@rel32@lo+8
	s_addc_u32 s3, s3, constant_data@rel32@hi+16
.LBB0_3:                                ; =>This Inner Loop Header: Depth=1
	s_clause 0xf
	s_load_b32 s6, s[2:3], 0x0
	s_load_b32 s7, s[2:3], 0x10
	s_load_b32 s8, s[2:3], 0x20
	s_load_b32 s9, s[2:3], 0x30
	s_load_b32 s10, s[2:3], 0x40
	s_load_b32 s11, s[2:3], 0x50
	s_load_b32 s12, s[2:3], 0x60
	s_load_b32 s13, s[2:3], 0x70
	s_load_b32 s14, s[2:3], 0x80
	s_load_b32 s16, s[2:3], 0x90
	s_load_b32 s17, s[2:3], 0xa0
	s_load_b32 s18, s[2:3], 0xb0
	s_load_b32 s19, s[2:3], 0xc0
	s_load_b32 s20, s[2:3], 0xd0
	s_load_b32 s21, s[2:3], 0xe0
	s_load_b32 s22, s[2:3], 0xf0
	s_waitcnt lgkmcnt(0)
	s_add_i32 s6, s6, s4
	s_delay_alu instid0(SALU_CYCLE_1) | instskip(NEXT) | instid1(SALU_CYCLE_1)
	s_add_i32 s7, s7, s6
	s_add_i32 s8, s8, s7
	s_delay_alu instid0(SALU_CYCLE_1) | instskip(NEXT) | instid1(SALU_CYCLE_1)
	s_add_i32 s9, s9, s8
	s_add_i32 s10, s10, s9
	s_delay_alu instid0(SALU_CYCLE_1) | instskip(NEXT) | instid1(SALU_CYCLE_1)
	s_add_i32 s11, s11, s10
	s_add_i32 s12, s12, s11
	s_delay_alu instid0(SALU_CYCLE_1) | instskip(NEXT) | instid1(SALU_CYCLE_1)
	s_add_i32 s13, s13, s12
	s_add_i32 s14, s14, s13
	s_delay_alu instid0(SALU_CYCLE_1) | instskip(NEXT) | instid1(SALU_CYCLE_1)
	s_add_i32 s16, s16, s14
	s_add_i32 s17, s17, s16
	s_delay_alu instid0(SALU_CYCLE_1) | instskip(NEXT) | instid1(SALU_CYCLE_1)
	s_add_i32 s18, s18, s17
	s_add_i32 s19, s19, s18
	s_delay_alu instid0(SALU_CYCLE_1) | instskip(NEXT) | instid1(SALU_CYCLE_1)
	s_add_i32 s20, s20, s19
	s_add_i32 s21, s21, s20
	s_delay_alu instid0(SALU_CYCLE_1) | instskip(SKIP_3) | instid1(SALU_CYCLE_1)
	s_add_i32 s4, s22, s21
	s_add_u32 s2, s2, 0x100
	s_addc_u32 s3, s3, 0
	s_add_i32 s5, s5, 64
	s_cmpk_lt_u32 s5, 0x3fc
	s_cbranch_scc1 .LBB0_3
; %bb.4:
	s_mov_b32 s5, -4
	s_getpc_b64 s[2:3]
	s_add_u32 s2, s2, constant_data@rel32@lo+12
	s_addc_u32 s3, s3, constant_data@rel32@hi+20
.LBB0_5:                                ; =>This Inner Loop Header: Depth=1
	s_clause 0xf
	s_load_b32 s6, s[2:3], 0x0
	s_load_b32 s7, s[2:3], 0x10
	s_load_b32 s8, s[2:3], 0x20
	s_load_b32 s9, s[2:3], 0x30
	s_load_b32 s10, s[2:3], 0x40
	s_load_b32 s11, s[2:3], 0x50
	s_load_b32 s12, s[2:3], 0x60
	s_load_b32 s13, s[2:3], 0x70
	s_load_b32 s14, s[2:3], 0x80
	s_load_b32 s16, s[2:3], 0x90
	s_load_b32 s17, s[2:3], 0xa0
	s_load_b32 s18, s[2:3], 0xb0
	s_load_b32 s19, s[2:3], 0xc0
	s_load_b32 s20, s[2:3], 0xd0
	s_load_b32 s21, s[2:3], 0xe0
	s_load_b32 s22, s[2:3], 0xf0
	s_waitcnt lgkmcnt(0)
	s_add_i32 s6, s6, s4
	s_delay_alu instid0(SALU_CYCLE_1) | instskip(NEXT) | instid1(SALU_CYCLE_1)
	s_add_i32 s7, s7, s6
	s_add_i32 s8, s8, s7
	s_delay_alu instid0(SALU_CYCLE_1) | instskip(NEXT) | instid1(SALU_CYCLE_1)
	s_add_i32 s9, s9, s8
	s_add_i32 s10, s10, s9
	s_delay_alu instid0(SALU_CYCLE_1) | instskip(NEXT) | instid1(SALU_CYCLE_1)
	s_add_i32 s11, s11, s10
	s_add_i32 s12, s12, s11
	s_delay_alu instid0(SALU_CYCLE_1) | instskip(NEXT) | instid1(SALU_CYCLE_1)
	s_add_i32 s13, s13, s12
	s_add_i32 s14, s14, s13
	s_delay_alu instid0(SALU_CYCLE_1) | instskip(NEXT) | instid1(SALU_CYCLE_1)
	s_add_i32 s16, s16, s14
	s_add_i32 s17, s17, s16
	s_delay_alu instid0(SALU_CYCLE_1) | instskip(NEXT) | instid1(SALU_CYCLE_1)
	s_add_i32 s18, s18, s17
	s_add_i32 s19, s19, s18
	s_delay_alu instid0(SALU_CYCLE_1) | instskip(NEXT) | instid1(SALU_CYCLE_1)
	s_add_i32 s20, s20, s19
	s_add_i32 s21, s21, s20
	s_delay_alu instid0(SALU_CYCLE_1) | instskip(SKIP_3) | instid1(SALU_CYCLE_1)
	s_add_i32 s4, s22, s21
	s_add_u32 s2, s2, 0x100
	s_addc_u32 s3, s3, 0
	s_add_i32 s5, s5, 64
	s_cmpk_lt_u32 s5, 0x3fc
	s_cbranch_scc1 .LBB0_5
	;; [unrolled: 53-line block ×3, first 2 shown]
; %bb.8:
	v_or_b32_e32 v0, s15, v0
	s_mov_b32 s2, exec_lo
	s_delay_alu instid0(VALU_DEP_1)
	v_cmpx_eq_u32_e32 0, v0
	s_cbranch_execz .LBB0_10
; %bb.9:
	s_load_b64 s[0:1], s[0:1], 0x0
	v_dual_mov_b32 v0, 0 :: v_dual_mov_b32 v1, s4
	s_waitcnt lgkmcnt(0)
	global_store_b32 v0, v1, s[0:1]
.LBB0_10:
	s_nop 0
	s_sendmsg sendmsg(MSG_DEALLOC_VGPRS)
	s_endpgm
	.section	.rodata,"a",@progbits
	.p2align	6, 0x0
	.amdhsa_kernel _Z18benchmark_constantIiEvPii
		.amdhsa_group_segment_fixed_size 0
		.amdhsa_private_segment_fixed_size 0
		.amdhsa_kernarg_size 12
		.amdhsa_user_sgpr_count 15
		.amdhsa_user_sgpr_dispatch_ptr 0
		.amdhsa_user_sgpr_queue_ptr 0
		.amdhsa_user_sgpr_kernarg_segment_ptr 1
		.amdhsa_user_sgpr_dispatch_id 0
		.amdhsa_user_sgpr_private_segment_size 0
		.amdhsa_wavefront_size32 1
		.amdhsa_uses_dynamic_stack 0
		.amdhsa_enable_private_segment 0
		.amdhsa_system_sgpr_workgroup_id_x 1
		.amdhsa_system_sgpr_workgroup_id_y 0
		.amdhsa_system_sgpr_workgroup_id_z 0
		.amdhsa_system_sgpr_workgroup_info 0
		.amdhsa_system_vgpr_workitem_id 0
		.amdhsa_next_free_vgpr 2
		.amdhsa_next_free_sgpr 23
		.amdhsa_reserve_vcc 0
		.amdhsa_float_round_mode_32 0
		.amdhsa_float_round_mode_16_64 0
		.amdhsa_float_denorm_mode_32 3
		.amdhsa_float_denorm_mode_16_64 3
		.amdhsa_dx10_clamp 1
		.amdhsa_ieee_mode 1
		.amdhsa_fp16_overflow 0
		.amdhsa_workgroup_processor_mode 1
		.amdhsa_memory_ordered 1
		.amdhsa_forward_progress 0
		.amdhsa_shared_vgpr_count 0
		.amdhsa_exception_fp_ieee_invalid_op 0
		.amdhsa_exception_fp_denorm_src 0
		.amdhsa_exception_fp_ieee_div_zero 0
		.amdhsa_exception_fp_ieee_overflow 0
		.amdhsa_exception_fp_ieee_underflow 0
		.amdhsa_exception_fp_ieee_inexact 0
		.amdhsa_exception_int_div_zero 0
	.end_amdhsa_kernel
	.section	.text._Z18benchmark_constantIiEvPii,"axG",@progbits,_Z18benchmark_constantIiEvPii,comdat
.Lfunc_end0:
	.size	_Z18benchmark_constantIiEvPii, .Lfunc_end0-_Z18benchmark_constantIiEvPii
                                        ; -- End function
	.section	.AMDGPU.csdata,"",@progbits
; Kernel info:
; codeLenInByte = 1176
; NumSgprs: 23
; NumVgprs: 2
; ScratchSize: 0
; MemoryBound: 0
; FloatMode: 240
; IeeeMode: 1
; LDSByteSize: 0 bytes/workgroup (compile time only)
; SGPRBlocks: 2
; VGPRBlocks: 0
; NumSGPRsForWavesPerEU: 23
; NumVGPRsForWavesPerEU: 2
; Occupancy: 16
; WaveLimiterHint : 0
; COMPUTE_PGM_RSRC2:SCRATCH_EN: 0
; COMPUTE_PGM_RSRC2:USER_SGPR: 15
; COMPUTE_PGM_RSRC2:TRAP_HANDLER: 0
; COMPUTE_PGM_RSRC2:TGID_X_EN: 1
; COMPUTE_PGM_RSRC2:TGID_Y_EN: 0
; COMPUTE_PGM_RSRC2:TGID_Z_EN: 0
; COMPUTE_PGM_RSRC2:TIDIG_COMP_CNT: 0
	.section	.text._Z18benchmark_constantI15HIP_vector_typeIiLj2EEEvPii,"axG",@progbits,_Z18benchmark_constantI15HIP_vector_typeIiLj2EEEvPii,comdat
	.protected	_Z18benchmark_constantI15HIP_vector_typeIiLj2EEEvPii ; -- Begin function _Z18benchmark_constantI15HIP_vector_typeIiLj2EEEvPii
	.globl	_Z18benchmark_constantI15HIP_vector_typeIiLj2EEEvPii
	.p2align	8
	.type	_Z18benchmark_constantI15HIP_vector_typeIiLj2EEEvPii,@function
_Z18benchmark_constantI15HIP_vector_typeIiLj2EEEvPii: ; @_Z18benchmark_constantI15HIP_vector_typeIiLj2EEEvPii
; %bb.0:
	s_mov_b32 s4, 0
	s_mov_b32 s6, -4
	s_mov_b32 s5, 0
	s_getpc_b64 s[2:3]
	s_add_u32 s2, s2, constant_data@rel32@lo+4
	s_addc_u32 s3, s3, constant_data@rel32@hi+12
.LBB1_1:                                ; =>This Inner Loop Header: Depth=1
	s_clause 0xf
	s_load_b64 s[8:9], s[2:3], 0x0
	s_load_b64 s[10:11], s[2:3], 0x20
	s_load_b64 s[12:13], s[2:3], 0x40
	s_load_b64 s[16:17], s[2:3], 0x60
	s_load_b64 s[18:19], s[2:3], 0x80
	s_load_b64 s[20:21], s[2:3], 0xa0
	s_load_b64 s[22:23], s[2:3], 0xc0
	s_load_b64 s[24:25], s[2:3], 0xe0
	s_load_b64 s[26:27], s[2:3], 0x100
	s_load_b64 s[28:29], s[2:3], 0x120
	s_load_b64 s[30:31], s[2:3], 0x140
	s_load_b64 s[34:35], s[2:3], 0x160
	s_load_b64 s[36:37], s[2:3], 0x180
	s_load_b64 s[38:39], s[2:3], 0x1a0
	s_load_b64 s[40:41], s[2:3], 0x1c0
	s_load_b64 s[42:43], s[2:3], 0x1e0
	s_add_i32 s6, s6, 64
	s_waitcnt lgkmcnt(0)
	s_add_i32 s4, s8, s4
	s_add_i32 s5, s9, s5
	;; [unrolled: 1-line block ×32, first 2 shown]
	s_add_u32 s2, s2, 0x200
	s_addc_u32 s3, s3, 0
	s_cmpk_lt_u32 s6, 0x1fc
	s_cbranch_scc1 .LBB1_1
; %bb.2:
	s_mov_b32 s6, -4
	s_getpc_b64 s[2:3]
	s_add_u32 s2, s2, constant_data@rel32@lo+12
	s_addc_u32 s3, s3, constant_data@rel32@hi+20
.LBB1_3:                                ; =>This Inner Loop Header: Depth=1
	s_clause 0xf
	s_load_b64 s[8:9], s[2:3], 0x0
	s_load_b64 s[10:11], s[2:3], 0x20
	s_load_b64 s[12:13], s[2:3], 0x40
	s_load_b64 s[16:17], s[2:3], 0x60
	s_load_b64 s[18:19], s[2:3], 0x80
	s_load_b64 s[20:21], s[2:3], 0xa0
	s_load_b64 s[22:23], s[2:3], 0xc0
	s_load_b64 s[24:25], s[2:3], 0xe0
	s_load_b64 s[26:27], s[2:3], 0x100
	s_load_b64 s[28:29], s[2:3], 0x120
	s_load_b64 s[30:31], s[2:3], 0x140
	s_load_b64 s[34:35], s[2:3], 0x160
	s_load_b64 s[36:37], s[2:3], 0x180
	s_load_b64 s[38:39], s[2:3], 0x1a0
	s_load_b64 s[40:41], s[2:3], 0x1c0
	s_load_b64 s[42:43], s[2:3], 0x1e0
	s_waitcnt lgkmcnt(0)
	s_add_i32 s4, s8, s4
	s_add_i32 s5, s9, s5
	s_add_i32 s4, s10, s4
	s_add_i32 s5, s11, s5
	s_add_i32 s4, s12, s4
	s_add_i32 s5, s13, s5
	s_add_i32 s4, s16, s4
	s_add_i32 s5, s17, s5
	s_add_i32 s4, s18, s4
	s_add_i32 s5, s19, s5
	s_add_i32 s4, s20, s4
	s_add_i32 s5, s21, s5
	s_add_i32 s4, s22, s4
	s_add_i32 s5, s23, s5
	s_add_i32 s4, s24, s4
	s_add_i32 s5, s25, s5
	s_add_i32 s4, s26, s4
	s_add_i32 s5, s27, s5
	s_add_i32 s4, s28, s4
	s_add_i32 s5, s29, s5
	s_add_i32 s4, s30, s4
	s_add_i32 s5, s31, s5
	s_add_i32 s4, s34, s4
	s_add_i32 s5, s35, s5
	s_add_i32 s4, s36, s4
	s_add_i32 s5, s37, s5
	s_add_i32 s4, s38, s4
	s_add_i32 s5, s39, s5
	s_add_i32 s4, s40, s4
	s_add_i32 s5, s41, s5
	s_add_i32 s4, s42, s4
	s_add_i32 s5, s43, s5
	s_add_u32 s2, s2, 0x200
	s_addc_u32 s3, s3, 0
	s_add_i32 s6, s6, 64
	s_delay_alu instid0(SALU_CYCLE_1)
	s_cmpk_lt_u32 s6, 0x1fc
	s_cbranch_scc1 .LBB1_3
; %bb.4:
	s_mov_b32 s6, -4
	s_getpc_b64 s[2:3]
	s_add_u32 s2, s2, constant_data@rel32@lo+20
	s_addc_u32 s3, s3, constant_data@rel32@hi+28
.LBB1_5:                                ; =>This Inner Loop Header: Depth=1
	s_clause 0xf
	s_load_b64 s[8:9], s[2:3], 0x0
	s_load_b64 s[10:11], s[2:3], 0x20
	s_load_b64 s[12:13], s[2:3], 0x40
	s_load_b64 s[16:17], s[2:3], 0x60
	s_load_b64 s[18:19], s[2:3], 0x80
	s_load_b64 s[20:21], s[2:3], 0xa0
	s_load_b64 s[22:23], s[2:3], 0xc0
	s_load_b64 s[24:25], s[2:3], 0xe0
	s_load_b64 s[26:27], s[2:3], 0x100
	s_load_b64 s[28:29], s[2:3], 0x120
	s_load_b64 s[30:31], s[2:3], 0x140
	s_load_b64 s[34:35], s[2:3], 0x160
	s_load_b64 s[36:37], s[2:3], 0x180
	s_load_b64 s[38:39], s[2:3], 0x1a0
	s_load_b64 s[40:41], s[2:3], 0x1c0
	s_load_b64 s[42:43], s[2:3], 0x1e0
	s_waitcnt lgkmcnt(0)
	s_add_i32 s4, s8, s4
	s_add_i32 s5, s9, s5
	s_add_i32 s4, s10, s4
	s_add_i32 s5, s11, s5
	s_add_i32 s4, s12, s4
	s_add_i32 s5, s13, s5
	s_add_i32 s4, s16, s4
	s_add_i32 s5, s17, s5
	s_add_i32 s4, s18, s4
	s_add_i32 s5, s19, s5
	s_add_i32 s4, s20, s4
	s_add_i32 s5, s21, s5
	s_add_i32 s4, s22, s4
	s_add_i32 s5, s23, s5
	s_add_i32 s4, s24, s4
	s_add_i32 s5, s25, s5
	s_add_i32 s4, s26, s4
	s_add_i32 s5, s27, s5
	s_add_i32 s4, s28, s4
	s_add_i32 s5, s29, s5
	s_add_i32 s4, s30, s4
	s_add_i32 s5, s31, s5
	s_add_i32 s4, s34, s4
	s_add_i32 s5, s35, s5
	s_add_i32 s4, s36, s4
	s_add_i32 s5, s37, s5
	s_add_i32 s4, s38, s4
	s_add_i32 s5, s39, s5
	s_add_i32 s4, s40, s4
	s_add_i32 s5, s41, s5
	s_add_i32 s4, s42, s4
	s_add_i32 s5, s43, s5
	s_add_u32 s2, s2, 0x200
	s_addc_u32 s3, s3, 0
	s_add_i32 s6, s6, 64
	s_delay_alu instid0(SALU_CYCLE_1)
	s_cmpk_lt_u32 s6, 0x1fc
	s_cbranch_scc1 .LBB1_5
; %bb.6:
	s_mov_b32 s6, -4
	s_getpc_b64 s[2:3]
	s_add_u32 s2, s2, constant_data@rel32@lo+28
	s_addc_u32 s3, s3, constant_data@rel32@hi+36
.LBB1_7:                                ; =>This Inner Loop Header: Depth=1
	s_clause 0xf
	s_load_b64 s[8:9], s[2:3], 0x0
	s_load_b64 s[10:11], s[2:3], 0x20
	s_load_b64 s[12:13], s[2:3], 0x40
	s_load_b64 s[16:17], s[2:3], 0x60
	s_load_b64 s[18:19], s[2:3], 0x80
	s_load_b64 s[20:21], s[2:3], 0xa0
	s_load_b64 s[22:23], s[2:3], 0xc0
	s_load_b64 s[24:25], s[2:3], 0xe0
	s_load_b64 s[26:27], s[2:3], 0x100
	s_load_b64 s[28:29], s[2:3], 0x120
	s_load_b64 s[30:31], s[2:3], 0x140
	s_load_b64 s[34:35], s[2:3], 0x160
	s_load_b64 s[36:37], s[2:3], 0x180
	s_load_b64 s[38:39], s[2:3], 0x1a0
	s_load_b64 s[40:41], s[2:3], 0x1c0
	s_load_b64 s[42:43], s[2:3], 0x1e0
	s_waitcnt lgkmcnt(0)
	s_add_i32 s4, s8, s4
	s_add_i32 s5, s9, s5
	s_add_i32 s4, s10, s4
	s_add_i32 s5, s11, s5
	s_add_i32 s4, s12, s4
	s_add_i32 s5, s13, s5
	s_add_i32 s4, s16, s4
	s_add_i32 s5, s17, s5
	s_add_i32 s4, s18, s4
	s_add_i32 s5, s19, s5
	s_add_i32 s4, s20, s4
	s_add_i32 s5, s21, s5
	s_add_i32 s4, s22, s4
	s_add_i32 s5, s23, s5
	s_add_i32 s4, s24, s4
	s_add_i32 s5, s25, s5
	s_add_i32 s4, s26, s4
	s_add_i32 s5, s27, s5
	s_add_i32 s4, s28, s4
	s_add_i32 s5, s29, s5
	s_add_i32 s4, s30, s4
	s_add_i32 s5, s31, s5
	s_add_i32 s4, s34, s4
	s_add_i32 s5, s35, s5
	s_add_i32 s4, s36, s4
	s_add_i32 s5, s37, s5
	s_add_i32 s4, s38, s4
	s_add_i32 s5, s39, s5
	s_add_i32 s4, s40, s4
	s_add_i32 s5, s41, s5
	s_add_i32 s4, s42, s4
	s_add_i32 s5, s43, s5
	s_add_u32 s2, s2, 0x200
	s_addc_u32 s3, s3, 0
	s_add_i32 s6, s6, 64
	s_delay_alu instid0(SALU_CYCLE_1)
	s_cmpk_lt_u32 s6, 0x1fc
	s_cbranch_scc1 .LBB1_7
; %bb.8:
	v_or_b32_e32 v0, s15, v0
	s_mov_b32 s2, exec_lo
	s_delay_alu instid0(VALU_DEP_1)
	v_cmpx_eq_u32_e32 0, v0
	s_cbranch_execz .LBB1_10
; %bb.9:
	s_load_b64 s[0:1], s[0:1], 0x0
	s_add_i32 s2, s4, s5
	s_delay_alu instid0(SALU_CYCLE_1)
	v_dual_mov_b32 v0, 0 :: v_dual_mov_b32 v1, s2
	s_waitcnt lgkmcnt(0)
	global_store_b32 v0, v1, s[0:1]
.LBB1_10:
	s_nop 0
	s_sendmsg sendmsg(MSG_DEALLOC_VGPRS)
	s_endpgm
	.section	.rodata,"a",@progbits
	.p2align	6, 0x0
	.amdhsa_kernel _Z18benchmark_constantI15HIP_vector_typeIiLj2EEEvPii
		.amdhsa_group_segment_fixed_size 0
		.amdhsa_private_segment_fixed_size 0
		.amdhsa_kernarg_size 12
		.amdhsa_user_sgpr_count 15
		.amdhsa_user_sgpr_dispatch_ptr 0
		.amdhsa_user_sgpr_queue_ptr 0
		.amdhsa_user_sgpr_kernarg_segment_ptr 1
		.amdhsa_user_sgpr_dispatch_id 0
		.amdhsa_user_sgpr_private_segment_size 0
		.amdhsa_wavefront_size32 1
		.amdhsa_uses_dynamic_stack 0
		.amdhsa_enable_private_segment 0
		.amdhsa_system_sgpr_workgroup_id_x 1
		.amdhsa_system_sgpr_workgroup_id_y 0
		.amdhsa_system_sgpr_workgroup_id_z 0
		.amdhsa_system_sgpr_workgroup_info 0
		.amdhsa_system_vgpr_workitem_id 0
		.amdhsa_next_free_vgpr 2
		.amdhsa_next_free_sgpr 44
		.amdhsa_reserve_vcc 0
		.amdhsa_float_round_mode_32 0
		.amdhsa_float_round_mode_16_64 0
		.amdhsa_float_denorm_mode_32 3
		.amdhsa_float_denorm_mode_16_64 3
		.amdhsa_dx10_clamp 1
		.amdhsa_ieee_mode 1
		.amdhsa_fp16_overflow 0
		.amdhsa_workgroup_processor_mode 1
		.amdhsa_memory_ordered 1
		.amdhsa_forward_progress 0
		.amdhsa_shared_vgpr_count 0
		.amdhsa_exception_fp_ieee_invalid_op 0
		.amdhsa_exception_fp_denorm_src 0
		.amdhsa_exception_fp_ieee_div_zero 0
		.amdhsa_exception_fp_ieee_overflow 0
		.amdhsa_exception_fp_ieee_underflow 0
		.amdhsa_exception_fp_ieee_inexact 0
		.amdhsa_exception_int_div_zero 0
	.end_amdhsa_kernel
	.section	.text._Z18benchmark_constantI15HIP_vector_typeIiLj2EEEvPii,"axG",@progbits,_Z18benchmark_constantI15HIP_vector_typeIiLj2EEEvPii,comdat
.Lfunc_end1:
	.size	_Z18benchmark_constantI15HIP_vector_typeIiLj2EEEvPii, .Lfunc_end1-_Z18benchmark_constantI15HIP_vector_typeIiLj2EEEvPii
                                        ; -- End function
	.section	.AMDGPU.csdata,"",@progbits
; Kernel info:
; codeLenInByte = 1336
; NumSgprs: 44
; NumVgprs: 2
; ScratchSize: 0
; MemoryBound: 0
; FloatMode: 240
; IeeeMode: 1
; LDSByteSize: 0 bytes/workgroup (compile time only)
; SGPRBlocks: 5
; VGPRBlocks: 0
; NumSGPRsForWavesPerEU: 44
; NumVGPRsForWavesPerEU: 2
; Occupancy: 16
; WaveLimiterHint : 0
; COMPUTE_PGM_RSRC2:SCRATCH_EN: 0
; COMPUTE_PGM_RSRC2:USER_SGPR: 15
; COMPUTE_PGM_RSRC2:TRAP_HANDLER: 0
; COMPUTE_PGM_RSRC2:TGID_X_EN: 1
; COMPUTE_PGM_RSRC2:TGID_Y_EN: 0
; COMPUTE_PGM_RSRC2:TGID_Z_EN: 0
; COMPUTE_PGM_RSRC2:TIDIG_COMP_CNT: 0
	.section	.text._Z18benchmark_constantI15HIP_vector_typeIiLj4EEEvPii,"axG",@progbits,_Z18benchmark_constantI15HIP_vector_typeIiLj4EEEvPii,comdat
	.protected	_Z18benchmark_constantI15HIP_vector_typeIiLj4EEEvPii ; -- Begin function _Z18benchmark_constantI15HIP_vector_typeIiLj4EEEvPii
	.globl	_Z18benchmark_constantI15HIP_vector_typeIiLj4EEEvPii
	.p2align	8
	.type	_Z18benchmark_constantI15HIP_vector_typeIiLj4EEEvPii,@function
_Z18benchmark_constantI15HIP_vector_typeIiLj4EEEvPii: ; @_Z18benchmark_constantI15HIP_vector_typeIiLj4EEEvPii
; %bb.0:
	s_mov_b32 s4, 0
	s_mov_b32 s8, -4
	s_mov_b32 s5, 0
	s_mov_b32 s6, 0
	;; [unrolled: 1-line block ×3, first 2 shown]
	s_getpc_b64 s[2:3]
	s_add_u32 s2, s2, constant_data@rel32@lo+4
	s_addc_u32 s3, s3, constant_data@rel32@hi+12
.LBB2_1:                                ; =>This Inner Loop Header: Depth=1
	s_clause 0x7
	s_load_b128 s[16:19], s[2:3], 0x0
	s_load_b128 s[20:23], s[2:3], 0x40
	;; [unrolled: 1-line block ×8, first 2 shown]
	s_add_i32 s8, s8, 32
	s_waitcnt lgkmcnt(0)
	s_add_i32 s4, s16, s4
	s_add_i32 s5, s17, s5
	;; [unrolled: 1-line block ×32, first 2 shown]
	s_add_u32 s2, s2, 0x200
	s_addc_u32 s3, s3, 0
	s_cmpk_lt_u32 s8, 0xfc
	s_cbranch_scc1 .LBB2_1
; %bb.2:
	s_mov_b32 s8, -4
	s_getpc_b64 s[2:3]
	s_add_u32 s2, s2, constant_data@rel32@lo+20
	s_addc_u32 s3, s3, constant_data@rel32@hi+28
.LBB2_3:                                ; =>This Inner Loop Header: Depth=1
	s_clause 0x7
	s_load_b128 s[16:19], s[2:3], 0x0
	s_load_b128 s[20:23], s[2:3], 0x40
	s_load_b128 s[24:27], s[2:3], 0x80
	s_load_b128 s[28:31], s[2:3], 0xc0
	s_load_b128 s[36:39], s[2:3], 0x100
	s_load_b128 s[40:43], s[2:3], 0x140
	s_load_b128 s[44:47], s[2:3], 0x180
	s_load_b128 s[48:51], s[2:3], 0x1c0
	s_waitcnt lgkmcnt(0)
	s_add_i32 s4, s16, s4
	s_add_i32 s5, s17, s5
	s_add_i32 s6, s18, s6
	s_add_i32 s7, s19, s7
	s_add_i32 s4, s20, s4
	s_add_i32 s5, s21, s5
	s_add_i32 s6, s22, s6
	s_add_i32 s7, s23, s7
	s_add_i32 s4, s24, s4
	s_add_i32 s5, s25, s5
	s_add_i32 s6, s26, s6
	s_add_i32 s7, s27, s7
	s_add_i32 s4, s28, s4
	s_add_i32 s5, s29, s5
	s_add_i32 s6, s30, s6
	s_add_i32 s7, s31, s7
	s_add_i32 s4, s36, s4
	s_add_i32 s5, s37, s5
	s_add_i32 s6, s38, s6
	s_add_i32 s7, s39, s7
	s_add_i32 s4, s40, s4
	s_add_i32 s5, s41, s5
	s_add_i32 s6, s42, s6
	s_add_i32 s7, s43, s7
	s_add_i32 s4, s44, s4
	s_add_i32 s5, s45, s5
	s_add_i32 s6, s46, s6
	s_add_i32 s7, s47, s7
	s_add_i32 s4, s48, s4
	s_add_i32 s5, s49, s5
	s_add_i32 s6, s50, s6
	s_add_i32 s7, s51, s7
	s_add_u32 s2, s2, 0x200
	s_addc_u32 s3, s3, 0
	s_add_i32 s8, s8, 32
	s_delay_alu instid0(SALU_CYCLE_1)
	s_cmpk_lt_u32 s8, 0xfc
	s_cbranch_scc1 .LBB2_3
; %bb.4:
	s_mov_b32 s8, -4
	s_getpc_b64 s[2:3]
	s_add_u32 s2, s2, constant_data@rel32@lo+36
	s_addc_u32 s3, s3, constant_data@rel32@hi+44
.LBB2_5:                                ; =>This Inner Loop Header: Depth=1
	s_clause 0x7
	s_load_b128 s[16:19], s[2:3], 0x0
	s_load_b128 s[20:23], s[2:3], 0x40
	s_load_b128 s[24:27], s[2:3], 0x80
	s_load_b128 s[28:31], s[2:3], 0xc0
	s_load_b128 s[36:39], s[2:3], 0x100
	s_load_b128 s[40:43], s[2:3], 0x140
	s_load_b128 s[44:47], s[2:3], 0x180
	s_load_b128 s[48:51], s[2:3], 0x1c0
	s_waitcnt lgkmcnt(0)
	s_add_i32 s4, s16, s4
	s_add_i32 s5, s17, s5
	s_add_i32 s6, s18, s6
	s_add_i32 s7, s19, s7
	s_add_i32 s4, s20, s4
	s_add_i32 s5, s21, s5
	s_add_i32 s6, s22, s6
	s_add_i32 s7, s23, s7
	s_add_i32 s4, s24, s4
	s_add_i32 s5, s25, s5
	s_add_i32 s6, s26, s6
	s_add_i32 s7, s27, s7
	s_add_i32 s4, s28, s4
	s_add_i32 s5, s29, s5
	s_add_i32 s6, s30, s6
	s_add_i32 s7, s31, s7
	s_add_i32 s4, s36, s4
	s_add_i32 s5, s37, s5
	s_add_i32 s6, s38, s6
	s_add_i32 s7, s39, s7
	s_add_i32 s4, s40, s4
	s_add_i32 s5, s41, s5
	s_add_i32 s6, s42, s6
	s_add_i32 s7, s43, s7
	s_add_i32 s4, s44, s4
	s_add_i32 s5, s45, s5
	s_add_i32 s6, s46, s6
	s_add_i32 s7, s47, s7
	s_add_i32 s4, s48, s4
	s_add_i32 s5, s49, s5
	s_add_i32 s6, s50, s6
	s_add_i32 s7, s51, s7
	s_add_u32 s2, s2, 0x200
	s_addc_u32 s3, s3, 0
	s_add_i32 s8, s8, 32
	s_delay_alu instid0(SALU_CYCLE_1)
	s_cmpk_lt_u32 s8, 0xfc
	s_cbranch_scc1 .LBB2_5
	;; [unrolled: 54-line block ×3, first 2 shown]
; %bb.8:
	v_or_b32_e32 v0, s15, v0
	s_mov_b32 s2, exec_lo
	s_delay_alu instid0(VALU_DEP_1)
	v_cmpx_eq_u32_e32 0, v0
	s_cbranch_execz .LBB2_10
; %bb.9:
	s_load_b64 s[0:1], s[0:1], 0x0
	s_add_i32 s2, s4, s5
	s_delay_alu instid0(SALU_CYCLE_1) | instskip(NEXT) | instid1(SALU_CYCLE_1)
	s_add_i32 s2, s2, s6
	s_add_i32 s2, s2, s7
	s_delay_alu instid0(SALU_CYCLE_1)
	v_dual_mov_b32 v0, 0 :: v_dual_mov_b32 v1, s2
	s_waitcnt lgkmcnt(0)
	global_store_b32 v0, v1, s[0:1]
.LBB2_10:
	s_nop 0
	s_sendmsg sendmsg(MSG_DEALLOC_VGPRS)
	s_endpgm
	.section	.rodata,"a",@progbits
	.p2align	6, 0x0
	.amdhsa_kernel _Z18benchmark_constantI15HIP_vector_typeIiLj4EEEvPii
		.amdhsa_group_segment_fixed_size 0
		.amdhsa_private_segment_fixed_size 0
		.amdhsa_kernarg_size 12
		.amdhsa_user_sgpr_count 15
		.amdhsa_user_sgpr_dispatch_ptr 0
		.amdhsa_user_sgpr_queue_ptr 0
		.amdhsa_user_sgpr_kernarg_segment_ptr 1
		.amdhsa_user_sgpr_dispatch_id 0
		.amdhsa_user_sgpr_private_segment_size 0
		.amdhsa_wavefront_size32 1
		.amdhsa_uses_dynamic_stack 0
		.amdhsa_enable_private_segment 0
		.amdhsa_system_sgpr_workgroup_id_x 1
		.amdhsa_system_sgpr_workgroup_id_y 0
		.amdhsa_system_sgpr_workgroup_id_z 0
		.amdhsa_system_sgpr_workgroup_info 0
		.amdhsa_system_vgpr_workitem_id 0
		.amdhsa_next_free_vgpr 2
		.amdhsa_next_free_sgpr 52
		.amdhsa_reserve_vcc 0
		.amdhsa_float_round_mode_32 0
		.amdhsa_float_round_mode_16_64 0
		.amdhsa_float_denorm_mode_32 3
		.amdhsa_float_denorm_mode_16_64 3
		.amdhsa_dx10_clamp 1
		.amdhsa_ieee_mode 1
		.amdhsa_fp16_overflow 0
		.amdhsa_workgroup_processor_mode 1
		.amdhsa_memory_ordered 1
		.amdhsa_forward_progress 0
		.amdhsa_shared_vgpr_count 0
		.amdhsa_exception_fp_ieee_invalid_op 0
		.amdhsa_exception_fp_denorm_src 0
		.amdhsa_exception_fp_ieee_div_zero 0
		.amdhsa_exception_fp_ieee_overflow 0
		.amdhsa_exception_fp_ieee_underflow 0
		.amdhsa_exception_fp_ieee_inexact 0
		.amdhsa_exception_int_div_zero 0
	.end_amdhsa_kernel
	.section	.text._Z18benchmark_constantI15HIP_vector_typeIiLj4EEEvPii,"axG",@progbits,_Z18benchmark_constantI15HIP_vector_typeIiLj4EEEvPii,comdat
.Lfunc_end2:
	.size	_Z18benchmark_constantI15HIP_vector_typeIiLj4EEEvPii, .Lfunc_end2-_Z18benchmark_constantI15HIP_vector_typeIiLj4EEEvPii
                                        ; -- End function
	.section	.AMDGPU.csdata,"",@progbits
; Kernel info:
; codeLenInByte = 1100
; NumSgprs: 52
; NumVgprs: 2
; ScratchSize: 0
; MemoryBound: 0
; FloatMode: 240
; IeeeMode: 1
; LDSByteSize: 0 bytes/workgroup (compile time only)
; SGPRBlocks: 6
; VGPRBlocks: 0
; NumSGPRsForWavesPerEU: 52
; NumVGPRsForWavesPerEU: 2
; Occupancy: 16
; WaveLimiterHint : 0
; COMPUTE_PGM_RSRC2:SCRATCH_EN: 0
; COMPUTE_PGM_RSRC2:USER_SGPR: 15
; COMPUTE_PGM_RSRC2:TRAP_HANDLER: 0
; COMPUTE_PGM_RSRC2:TGID_X_EN: 1
; COMPUTE_PGM_RSRC2:TGID_Y_EN: 0
; COMPUTE_PGM_RSRC2:TGID_Z_EN: 0
; COMPUTE_PGM_RSRC2:TIDIG_COMP_CNT: 0
	.text
	.p2alignl 7, 3214868480
	.fill 96, 4, 3214868480
	.protected	constant_data           ; @constant_data
	.type	constant_data,@object
	.section	.rodata,"a",@progbits
	.globl	constant_data
	.p2align	4, 0x0
constant_data:
	.zero	4096
	.size	constant_data, 4096

	.type	__hip_cuid_f769eb8e264fcd8f,@object ; @__hip_cuid_f769eb8e264fcd8f
	.section	.bss,"aw",@nobits
	.globl	__hip_cuid_f769eb8e264fcd8f
__hip_cuid_f769eb8e264fcd8f:
	.byte	0                               ; 0x0
	.size	__hip_cuid_f769eb8e264fcd8f, 1

	.ident	"AMD clang version 19.0.0git (https://github.com/RadeonOpenCompute/llvm-project roc-6.4.0 25133 c7fe45cf4b819c5991fe208aaa96edf142730f1d)"
	.section	".note.GNU-stack","",@progbits
	.addrsig
	.addrsig_sym constant_data
	.addrsig_sym __hip_cuid_f769eb8e264fcd8f
	.amdgpu_metadata
---
amdhsa.kernels:
  - .args:
      - .address_space:  global
        .offset:         0
        .size:           8
        .value_kind:     global_buffer
      - .offset:         8
        .size:           4
        .value_kind:     by_value
    .group_segment_fixed_size: 0
    .kernarg_segment_align: 8
    .kernarg_segment_size: 12
    .language:       OpenCL C
    .language_version:
      - 2
      - 0
    .max_flat_workgroup_size: 1024
    .name:           _Z18benchmark_constantIiEvPii
    .private_segment_fixed_size: 0
    .sgpr_count:     23
    .sgpr_spill_count: 0
    .symbol:         _Z18benchmark_constantIiEvPii.kd
    .uniform_work_group_size: 1
    .uses_dynamic_stack: false
    .vgpr_count:     2
    .vgpr_spill_count: 0
    .wavefront_size: 32
    .workgroup_processor_mode: 1
  - .args:
      - .address_space:  global
        .offset:         0
        .size:           8
        .value_kind:     global_buffer
      - .offset:         8
        .size:           4
        .value_kind:     by_value
    .group_segment_fixed_size: 0
    .kernarg_segment_align: 8
    .kernarg_segment_size: 12
    .language:       OpenCL C
    .language_version:
      - 2
      - 0
    .max_flat_workgroup_size: 1024
    .name:           _Z18benchmark_constantI15HIP_vector_typeIiLj2EEEvPii
    .private_segment_fixed_size: 0
    .sgpr_count:     44
    .sgpr_spill_count: 0
    .symbol:         _Z18benchmark_constantI15HIP_vector_typeIiLj2EEEvPii.kd
    .uniform_work_group_size: 1
    .uses_dynamic_stack: false
    .vgpr_count:     2
    .vgpr_spill_count: 0
    .wavefront_size: 32
    .workgroup_processor_mode: 1
  - .args:
      - .address_space:  global
        .offset:         0
        .size:           8
        .value_kind:     global_buffer
      - .offset:         8
        .size:           4
        .value_kind:     by_value
    .group_segment_fixed_size: 0
    .kernarg_segment_align: 8
    .kernarg_segment_size: 12
    .language:       OpenCL C
    .language_version:
      - 2
      - 0
    .max_flat_workgroup_size: 1024
    .name:           _Z18benchmark_constantI15HIP_vector_typeIiLj4EEEvPii
    .private_segment_fixed_size: 0
    .sgpr_count:     52
    .sgpr_spill_count: 0
    .symbol:         _Z18benchmark_constantI15HIP_vector_typeIiLj4EEEvPii.kd
    .uniform_work_group_size: 1
    .uses_dynamic_stack: false
    .vgpr_count:     2
    .vgpr_spill_count: 0
    .wavefront_size: 32
    .workgroup_processor_mode: 1
amdhsa.target:   amdgcn-amd-amdhsa--gfx1100
amdhsa.version:
  - 1
  - 2
...

	.end_amdgpu_metadata
